;; amdgpu-corpus repo=ROCm/aiter kind=compiled arch=gfx1250 opt=O3
	.amdgcn_target "amdgcn-amd-amdhsa--gfx1250"
	.amdhsa_code_object_version 6
	.section	.text._ZN12_GLOBAL__N_121numeric_limits_kernelEPj,"axG",@progbits,_ZN12_GLOBAL__N_121numeric_limits_kernelEPj,comdat
	.globl	_ZN12_GLOBAL__N_121numeric_limits_kernelEPj ; -- Begin function _ZN12_GLOBAL__N_121numeric_limits_kernelEPj
	.p2align	8
	.type	_ZN12_GLOBAL__N_121numeric_limits_kernelEPj,@function
_ZN12_GLOBAL__N_121numeric_limits_kernelEPj: ; @_ZN12_GLOBAL__N_121numeric_limits_kernelEPj
; %bb.0:
	s_mov_b32 s2, exec_lo
	v_cmpx_eq_u32_e32 0, v0
	s_cbranch_execz .LBB0_2
; %bb.1:
	s_get_pc_i64 s[2:3]
	s_add_nc_u64 s[2:3], s[2:3], _ZN4opus14numeric_limitsIfE7bin_minE@rel64+4
	s_get_pc_i64 s[4:5]
	s_add_nc_u64 s[4:5], s[4:5], _ZN4opus14numeric_limitsIfE7bin_maxE@rel64+4
	s_get_pc_i64 s[6:7]
	s_add_nc_u64 s[6:7], s[6:7], _ZN4opus14numeric_limitsIfE10bin_lowestE@rel64+4
	s_get_pc_i64 s[8:9]
	s_add_nc_u64 s[8:9], s[8:9], _ZN4opus14numeric_limitsIfE8bin_qnanE@rel64+4
	s_get_pc_i64 s[10:11]
	s_add_nc_u64 s[10:11], s[10:11], _ZN4opus14numeric_limitsIfE7bin_infE@rel64+4
	s_load_b32 s12, s[2:3], 0x0
	s_load_b32 s13, s[4:5], 0x0
	;; [unrolled: 1-line block ×5, first 2 shown]
	s_wait_xcnt 0x0
	s_get_pc_i64 s[2:3]
	s_add_nc_u64 s[2:3], s[2:3], _ZN4opus14numeric_limitsIDhE7bin_minE@rel64+4
	s_get_pc_i64 s[4:5]
	s_add_nc_u64 s[4:5], s[4:5], _ZN4opus14numeric_limitsIDhE7bin_maxE@rel64+4
	s_get_pc_i64 s[6:7]
	s_add_nc_u64 s[6:7], s[6:7], _ZN4opus14numeric_limitsIDhE10bin_lowestE@rel64+4
	s_get_pc_i64 s[8:9]
	s_add_nc_u64 s[8:9], s[8:9], _ZN4opus14numeric_limitsIDhE8bin_qnanE@rel64+4
	s_get_pc_i64 s[10:11]
	s_add_nc_u64 s[10:11], s[10:11], _ZN4opus14numeric_limitsIDhE7bin_infE@rel64+4
	s_load_b64 s[0:1], s[0:1], 0x0
	s_nop 0
	s_load_u16 s17, s[2:3], 0x0
	s_load_u16 s18, s[4:5], 0x0
	;; [unrolled: 1-line block ×5, first 2 shown]
	s_wait_xcnt 0x0
	s_get_pc_i64 s[2:3]
	s_add_nc_u64 s[2:3], s[2:3], _ZN4opus14numeric_limitsIDF16bE7bin_minE@rel64+4
	s_get_pc_i64 s[4:5]
	s_add_nc_u64 s[4:5], s[4:5], _ZN4opus14numeric_limitsIDF16bE7bin_maxE@rel64+4
	s_get_pc_i64 s[6:7]
	s_add_nc_u64 s[6:7], s[6:7], _ZN4opus14numeric_limitsIDF16bE10bin_lowestE@rel64+4
	s_get_pc_i64 s[8:9]
	s_add_nc_u64 s[8:9], s[8:9], _ZN4opus14numeric_limitsIDF16bE8bin_qnanE@rel64+4
	s_get_pc_i64 s[10:11]
	s_add_nc_u64 s[10:11], s[10:11], _ZN4opus14numeric_limitsIDF16bE7bin_infE@rel64+4
	s_load_u16 s22, s[2:3], 0x0
	s_load_u16 s23, s[4:5], 0x0
	;; [unrolled: 1-line block ×5, first 2 shown]
	s_wait_kmcnt 0x0
	v_dual_mov_b32 v2, 0 :: v_dual_mov_b32 v0, s12
	v_dual_mov_b32 v4, s13 :: v_dual_mov_b32 v5, s14
	;; [unrolled: 1-line block ×3, first 2 shown]
	v_bfrev_b32_e32 v20, 1
	v_mov_b32_e32 v1, 0x7f
	s_clause 0x1
	global_store_b32 v2, v0, s[0:1]
	global_store_b128 v2, v[4:7], s[0:1] offset:4
	s_wait_xcnt 0x0
	v_dual_mov_b32 v4, s17 :: v_dual_mov_b32 v5, s18
	v_dual_mov_b32 v6, s19 :: v_dual_mov_b32 v7, s20
	;; [unrolled: 1-line block ×10, first 2 shown]
	v_bfrev_b32_e32 v21, -2
	s_clause 0x5
	global_store_b128 v2, v[4:7], s[0:1] offset:20
	global_store_b128 v2, v[8:11], s[0:1] offset:36
	;; [unrolled: 1-line block ×6, first 2 shown]
	s_wait_xcnt 0x4
	v_dual_mov_b32 v10, 0x8000 :: v_dual_mov_b32 v7, v2
	s_wait_xcnt 0x0
	v_dual_mov_b32 v20, 0x80 :: v_dual_mov_b32 v17, v2
	v_dual_mov_b32 v6, -1 :: v_dual_mov_b32 v4, v2
	v_mov_b32_e32 v5, v2
	v_dual_mov_b32 v11, 0x7fff :: v_dual_mov_b32 v8, v2
	v_dual_mov_b32 v9, v2 :: v_dual_mov_b32 v12, v10
	;; [unrolled: 1-line block ×6, first 2 shown]
	v_mov_b64_e32 v[0:1], 0
	v_dual_mov_b32 v26, 0xff :: v_dual_mov_b32 v25, v2
	v_dual_mov_b32 v24, v2 :: v_dual_mov_b32 v27, v2
	s_clause 0x6
	global_store_b128 v2, v[4:7], s[0:1] offset:116
	global_store_b128 v2, v[8:11], s[0:1] offset:132
	;; [unrolled: 1-line block ×6, first 2 shown]
	global_store_b64 v2, v[0:1], s[0:1] offset:212
.LBB0_2:
	s_endpgm
	.section	.rodata,"a",@progbits
	.p2align	6, 0x0
	.amdhsa_kernel _ZN12_GLOBAL__N_121numeric_limits_kernelEPj
		.amdhsa_group_segment_fixed_size 0
		.amdhsa_private_segment_fixed_size 0
		.amdhsa_kernarg_size 8
		.amdhsa_user_sgpr_count 2
		.amdhsa_user_sgpr_dispatch_ptr 0
		.amdhsa_user_sgpr_queue_ptr 0
		.amdhsa_user_sgpr_kernarg_segment_ptr 1
		.amdhsa_user_sgpr_dispatch_id 0
		.amdhsa_user_sgpr_kernarg_preload_length 0
		.amdhsa_user_sgpr_kernarg_preload_offset 0
		.amdhsa_user_sgpr_private_segment_size 0
		.amdhsa_wavefront_size32 1
		.amdhsa_uses_dynamic_stack 0
		.amdhsa_enable_private_segment 0
		.amdhsa_system_sgpr_workgroup_id_x 1
		.amdhsa_system_sgpr_workgroup_id_y 0
		.amdhsa_system_sgpr_workgroup_id_z 0
		.amdhsa_system_sgpr_workgroup_info 0
		.amdhsa_system_vgpr_workitem_id 0
		.amdhsa_next_free_vgpr 28
		.amdhsa_next_free_sgpr 27
		.amdhsa_named_barrier_count 0
		.amdhsa_reserve_vcc 0
		.amdhsa_float_round_mode_32 0
		.amdhsa_float_round_mode_16_64 0
		.amdhsa_float_denorm_mode_32 3
		.amdhsa_float_denorm_mode_16_64 3
		.amdhsa_fp16_overflow 0
		.amdhsa_memory_ordered 1
		.amdhsa_forward_progress 1
		.amdhsa_inst_pref_size 7
		.amdhsa_round_robin_scheduling 0
		.amdhsa_exception_fp_ieee_invalid_op 0
		.amdhsa_exception_fp_denorm_src 0
		.amdhsa_exception_fp_ieee_div_zero 0
		.amdhsa_exception_fp_ieee_overflow 0
		.amdhsa_exception_fp_ieee_underflow 0
		.amdhsa_exception_fp_ieee_inexact 0
		.amdhsa_exception_int_div_zero 0
	.end_amdhsa_kernel
	.section	.text._ZN12_GLOBAL__N_121numeric_limits_kernelEPj,"axG",@progbits,_ZN12_GLOBAL__N_121numeric_limits_kernelEPj,comdat
.Lfunc_end0:
	.size	_ZN12_GLOBAL__N_121numeric_limits_kernelEPj, .Lfunc_end0-_ZN12_GLOBAL__N_121numeric_limits_kernelEPj
                                        ; -- End function
	.set _ZN12_GLOBAL__N_121numeric_limits_kernelEPj.num_vgpr, 28
	.set _ZN12_GLOBAL__N_121numeric_limits_kernelEPj.num_agpr, 0
	.set _ZN12_GLOBAL__N_121numeric_limits_kernelEPj.numbered_sgpr, 27
	.set _ZN12_GLOBAL__N_121numeric_limits_kernelEPj.num_named_barrier, 0
	.set _ZN12_GLOBAL__N_121numeric_limits_kernelEPj.private_seg_size, 0
	.set _ZN12_GLOBAL__N_121numeric_limits_kernelEPj.uses_vcc, 0
	.set _ZN12_GLOBAL__N_121numeric_limits_kernelEPj.uses_flat_scratch, 0
	.set _ZN12_GLOBAL__N_121numeric_limits_kernelEPj.has_dyn_sized_stack, 0
	.set _ZN12_GLOBAL__N_121numeric_limits_kernelEPj.has_recursion, 0
	.set _ZN12_GLOBAL__N_121numeric_limits_kernelEPj.has_indirect_call, 0
	.section	.AMDGPU.csdata,"",@progbits
; Kernel info:
; codeLenInByte = 868
; TotalNumSgprs: 27
; NumVgprs: 28
; ScratchSize: 0
; MemoryBound: 1
; FloatMode: 240
; IeeeMode: 1
; LDSByteSize: 0 bytes/workgroup (compile time only)
; SGPRBlocks: 0
; VGPRBlocks: 1
; NumSGPRsForWavesPerEU: 27
; NumVGPRsForWavesPerEU: 28
; NamedBarCnt: 0
; Occupancy: 16
; WaveLimiterHint : 1
; COMPUTE_PGM_RSRC2:SCRATCH_EN: 0
; COMPUTE_PGM_RSRC2:USER_SGPR: 2
; COMPUTE_PGM_RSRC2:TRAP_HANDLER: 0
; COMPUTE_PGM_RSRC2:TGID_X_EN: 1
; COMPUTE_PGM_RSRC2:TGID_Y_EN: 0
; COMPUTE_PGM_RSRC2:TGID_Z_EN: 0
; COMPUTE_PGM_RSRC2:TIDIG_COMP_CNT: 0
	.section	.AMDGPU.gpr_maximums,"",@progbits
	.set amdgpu.max_num_vgpr, 0
	.set amdgpu.max_num_agpr, 0
	.set amdgpu.max_num_sgpr, 0
	.section	.AMDGPU.csdata,"",@progbits
	.protected	_ZN4opus14numeric_limitsIfE7bin_minE ; @_ZN4opus14numeric_limitsIfE7bin_minE
	.type	_ZN4opus14numeric_limitsIfE7bin_minE,@object
	.section	.rodata._ZN4opus14numeric_limitsIfE7bin_minE,"aG",@progbits,_ZN4opus14numeric_limitsIfE7bin_minE,comdat
	.weak	_ZN4opus14numeric_limitsIfE7bin_minE
	.p2align	2, 0x0
_ZN4opus14numeric_limitsIfE7bin_minE:
	.long	8388608                         ; 0x800000
	.size	_ZN4opus14numeric_limitsIfE7bin_minE, 4

	.protected	_ZN4opus14numeric_limitsIfE7bin_maxE ; @_ZN4opus14numeric_limitsIfE7bin_maxE
	.type	_ZN4opus14numeric_limitsIfE7bin_maxE,@object
	.section	.rodata._ZN4opus14numeric_limitsIfE7bin_maxE,"aG",@progbits,_ZN4opus14numeric_limitsIfE7bin_maxE,comdat
	.weak	_ZN4opus14numeric_limitsIfE7bin_maxE
	.p2align	2, 0x0
_ZN4opus14numeric_limitsIfE7bin_maxE:
	.long	2139095039                      ; 0x7f7fffff
	.size	_ZN4opus14numeric_limitsIfE7bin_maxE, 4

	.protected	_ZN4opus14numeric_limitsIfE10bin_lowestE ; @_ZN4opus14numeric_limitsIfE10bin_lowestE
	.type	_ZN4opus14numeric_limitsIfE10bin_lowestE,@object
	.section	.rodata._ZN4opus14numeric_limitsIfE10bin_lowestE,"aG",@progbits,_ZN4opus14numeric_limitsIfE10bin_lowestE,comdat
	.weak	_ZN4opus14numeric_limitsIfE10bin_lowestE
	.p2align	2, 0x0
_ZN4opus14numeric_limitsIfE10bin_lowestE:
	.long	4286578687                      ; 0xff7fffff
	.size	_ZN4opus14numeric_limitsIfE10bin_lowestE, 4

	.protected	_ZN4opus14numeric_limitsIfE8bin_qnanE ; @_ZN4opus14numeric_limitsIfE8bin_qnanE
	.type	_ZN4opus14numeric_limitsIfE8bin_qnanE,@object
	.section	.rodata._ZN4opus14numeric_limitsIfE8bin_qnanE,"aG",@progbits,_ZN4opus14numeric_limitsIfE8bin_qnanE,comdat
	.weak	_ZN4opus14numeric_limitsIfE8bin_qnanE
	.p2align	2, 0x0
_ZN4opus14numeric_limitsIfE8bin_qnanE:
	.long	2143289344                      ; 0x7fc00000
	.size	_ZN4opus14numeric_limitsIfE8bin_qnanE, 4

	.protected	_ZN4opus14numeric_limitsIfE7bin_infE ; @_ZN4opus14numeric_limitsIfE7bin_infE
	.type	_ZN4opus14numeric_limitsIfE7bin_infE,@object
	.section	.rodata._ZN4opus14numeric_limitsIfE7bin_infE,"aG",@progbits,_ZN4opus14numeric_limitsIfE7bin_infE,comdat
	.weak	_ZN4opus14numeric_limitsIfE7bin_infE
	.p2align	2, 0x0
_ZN4opus14numeric_limitsIfE7bin_infE:
	.long	2139095040                      ; 0x7f800000
	.size	_ZN4opus14numeric_limitsIfE7bin_infE, 4

	.protected	_ZN4opus14numeric_limitsIDhE7bin_minE ; @_ZN4opus14numeric_limitsIDhE7bin_minE
	.type	_ZN4opus14numeric_limitsIDhE7bin_minE,@object
	.section	.rodata._ZN4opus14numeric_limitsIDhE7bin_minE,"aG",@progbits,_ZN4opus14numeric_limitsIDhE7bin_minE,comdat
	.weak	_ZN4opus14numeric_limitsIDhE7bin_minE
	.p2align	1, 0x0
_ZN4opus14numeric_limitsIDhE7bin_minE:
	.short	1024                            ; 0x400
	.size	_ZN4opus14numeric_limitsIDhE7bin_minE, 2

	.protected	_ZN4opus14numeric_limitsIDhE7bin_maxE ; @_ZN4opus14numeric_limitsIDhE7bin_maxE
	.type	_ZN4opus14numeric_limitsIDhE7bin_maxE,@object
	.section	.rodata._ZN4opus14numeric_limitsIDhE7bin_maxE,"aG",@progbits,_ZN4opus14numeric_limitsIDhE7bin_maxE,comdat
	.weak	_ZN4opus14numeric_limitsIDhE7bin_maxE
	.p2align	1, 0x0
_ZN4opus14numeric_limitsIDhE7bin_maxE:
	.short	31743                           ; 0x7bff
	.size	_ZN4opus14numeric_limitsIDhE7bin_maxE, 2

	.protected	_ZN4opus14numeric_limitsIDhE10bin_lowestE ; @_ZN4opus14numeric_limitsIDhE10bin_lowestE
	.type	_ZN4opus14numeric_limitsIDhE10bin_lowestE,@object
	.section	.rodata._ZN4opus14numeric_limitsIDhE10bin_lowestE,"aG",@progbits,_ZN4opus14numeric_limitsIDhE10bin_lowestE,comdat
	.weak	_ZN4opus14numeric_limitsIDhE10bin_lowestE
	.p2align	1, 0x0
_ZN4opus14numeric_limitsIDhE10bin_lowestE:
	.short	64511                           ; 0xfbff
	.size	_ZN4opus14numeric_limitsIDhE10bin_lowestE, 2

	.protected	_ZN4opus14numeric_limitsIDhE8bin_qnanE ; @_ZN4opus14numeric_limitsIDhE8bin_qnanE
	.type	_ZN4opus14numeric_limitsIDhE8bin_qnanE,@object
	.section	.rodata._ZN4opus14numeric_limitsIDhE8bin_qnanE,"aG",@progbits,_ZN4opus14numeric_limitsIDhE8bin_qnanE,comdat
	.weak	_ZN4opus14numeric_limitsIDhE8bin_qnanE
	.p2align	1, 0x0
_ZN4opus14numeric_limitsIDhE8bin_qnanE:
	.short	32256                           ; 0x7e00
	.size	_ZN4opus14numeric_limitsIDhE8bin_qnanE, 2

	.protected	_ZN4opus14numeric_limitsIDhE7bin_infE ; @_ZN4opus14numeric_limitsIDhE7bin_infE
	.type	_ZN4opus14numeric_limitsIDhE7bin_infE,@object
	.section	.rodata._ZN4opus14numeric_limitsIDhE7bin_infE,"aG",@progbits,_ZN4opus14numeric_limitsIDhE7bin_infE,comdat
	.weak	_ZN4opus14numeric_limitsIDhE7bin_infE
	.p2align	1, 0x0
_ZN4opus14numeric_limitsIDhE7bin_infE:
	.short	31744                           ; 0x7c00
	.size	_ZN4opus14numeric_limitsIDhE7bin_infE, 2

	.protected	_ZN4opus14numeric_limitsIDF16bE7bin_minE ; @_ZN4opus14numeric_limitsIDF16bE7bin_minE
	.type	_ZN4opus14numeric_limitsIDF16bE7bin_minE,@object
	.section	.rodata._ZN4opus14numeric_limitsIDF16bE7bin_minE,"aG",@progbits,_ZN4opus14numeric_limitsIDF16bE7bin_minE,comdat
	.weak	_ZN4opus14numeric_limitsIDF16bE7bin_minE
	.p2align	1, 0x0
_ZN4opus14numeric_limitsIDF16bE7bin_minE:
	.short	128                             ; 0x80
	.size	_ZN4opus14numeric_limitsIDF16bE7bin_minE, 2

	.protected	_ZN4opus14numeric_limitsIDF16bE7bin_maxE ; @_ZN4opus14numeric_limitsIDF16bE7bin_maxE
	.type	_ZN4opus14numeric_limitsIDF16bE7bin_maxE,@object
	.section	.rodata._ZN4opus14numeric_limitsIDF16bE7bin_maxE,"aG",@progbits,_ZN4opus14numeric_limitsIDF16bE7bin_maxE,comdat
	.weak	_ZN4opus14numeric_limitsIDF16bE7bin_maxE
	.p2align	1, 0x0
_ZN4opus14numeric_limitsIDF16bE7bin_maxE:
	.short	32639                           ; 0x7f7f
	.size	_ZN4opus14numeric_limitsIDF16bE7bin_maxE, 2

	.protected	_ZN4opus14numeric_limitsIDF16bE10bin_lowestE ; @_ZN4opus14numeric_limitsIDF16bE10bin_lowestE
	.type	_ZN4opus14numeric_limitsIDF16bE10bin_lowestE,@object
	.section	.rodata._ZN4opus14numeric_limitsIDF16bE10bin_lowestE,"aG",@progbits,_ZN4opus14numeric_limitsIDF16bE10bin_lowestE,comdat
	.weak	_ZN4opus14numeric_limitsIDF16bE10bin_lowestE
	.p2align	1, 0x0
_ZN4opus14numeric_limitsIDF16bE10bin_lowestE:
	.short	65407                           ; 0xff7f
	.size	_ZN4opus14numeric_limitsIDF16bE10bin_lowestE, 2

	.protected	_ZN4opus14numeric_limitsIDF16bE8bin_qnanE ; @_ZN4opus14numeric_limitsIDF16bE8bin_qnanE
	.type	_ZN4opus14numeric_limitsIDF16bE8bin_qnanE,@object
	.section	.rodata._ZN4opus14numeric_limitsIDF16bE8bin_qnanE,"aG",@progbits,_ZN4opus14numeric_limitsIDF16bE8bin_qnanE,comdat
	.weak	_ZN4opus14numeric_limitsIDF16bE8bin_qnanE
	.p2align	1, 0x0
_ZN4opus14numeric_limitsIDF16bE8bin_qnanE:
	.short	32704                           ; 0x7fc0
	.size	_ZN4opus14numeric_limitsIDF16bE8bin_qnanE, 2

	.protected	_ZN4opus14numeric_limitsIDF16bE7bin_infE ; @_ZN4opus14numeric_limitsIDF16bE7bin_infE
	.type	_ZN4opus14numeric_limitsIDF16bE7bin_infE,@object
	.section	.rodata._ZN4opus14numeric_limitsIDF16bE7bin_infE,"aG",@progbits,_ZN4opus14numeric_limitsIDF16bE7bin_infE,comdat
	.weak	_ZN4opus14numeric_limitsIDF16bE7bin_infE
	.p2align	1, 0x0
_ZN4opus14numeric_limitsIDF16bE7bin_infE:
	.short	32640                           ; 0x7f80
	.size	_ZN4opus14numeric_limitsIDF16bE7bin_infE, 2

	.type	__hip_cuid_4d339f0009d9b552,@object ; @__hip_cuid_4d339f0009d9b552
	.section	.bss,"aw",@nobits
	.globl	__hip_cuid_4d339f0009d9b552
__hip_cuid_4d339f0009d9b552:
	.byte	0                               ; 0x0
	.size	__hip_cuid_4d339f0009d9b552, 1

	.ident	"AMD clang version 22.0.0git (https://github.com/RadeonOpenCompute/llvm-project roc-7.2.4 26084 f58b06dce1f9c15707c5f808fd002e18c2accf7e)"
	.section	".note.GNU-stack","",@progbits
	.addrsig
	.addrsig_sym __hip_cuid_4d339f0009d9b552
	.amdgpu_metadata
---
amdhsa.kernels:
  - .args:
      - .address_space:  global
        .offset:         0
        .size:           8
        .value_kind:     global_buffer
    .group_segment_fixed_size: 0
    .kernarg_segment_align: 8
    .kernarg_segment_size: 8
    .language:       OpenCL C
    .language_version:
      - 2
      - 0
    .max_flat_workgroup_size: 1024
    .name:           _ZN12_GLOBAL__N_121numeric_limits_kernelEPj
    .private_segment_fixed_size: 0
    .sgpr_count:     27
    .sgpr_spill_count: 0
    .symbol:         _ZN12_GLOBAL__N_121numeric_limits_kernelEPj.kd
    .uniform_work_group_size: 1
    .uses_dynamic_stack: false
    .vgpr_count:     28
    .vgpr_spill_count: 0
    .wavefront_size: 32
amdhsa.target:   amdgcn-amd-amdhsa--gfx1250
amdhsa.version:
  - 1
  - 2
...

	.end_amdgpu_metadata
